;; amdgpu-corpus repo=ROCm/rocFFT kind=compiled arch=gfx950 opt=O3
	.text
	.amdgcn_target "amdgcn-amd-amdhsa--gfx950"
	.amdhsa_code_object_version 6
	.protected	fft_rtc_fwd_len768_factors_16_3_16_wgs_48_tpt_48_halfLds_dp_op_CI_CI_unitstride_sbrr_R2C_dirReg ; -- Begin function fft_rtc_fwd_len768_factors_16_3_16_wgs_48_tpt_48_halfLds_dp_op_CI_CI_unitstride_sbrr_R2C_dirReg
	.globl	fft_rtc_fwd_len768_factors_16_3_16_wgs_48_tpt_48_halfLds_dp_op_CI_CI_unitstride_sbrr_R2C_dirReg
	.p2align	8
	.type	fft_rtc_fwd_len768_factors_16_3_16_wgs_48_tpt_48_halfLds_dp_op_CI_CI_unitstride_sbrr_R2C_dirReg,@function
fft_rtc_fwd_len768_factors_16_3_16_wgs_48_tpt_48_halfLds_dp_op_CI_CI_unitstride_sbrr_R2C_dirReg: ; @fft_rtc_fwd_len768_factors_16_3_16_wgs_48_tpt_48_halfLds_dp_op_CI_CI_unitstride_sbrr_R2C_dirReg
; %bb.0:
	s_load_dwordx4 s[4:7], s[0:1], 0x58
	s_load_dwordx4 s[8:11], s[0:1], 0x0
	;; [unrolled: 1-line block ×3, first 2 shown]
	v_mul_u32_u24_e32 v1, 0x556, v0
	v_add_u32_sdwa v6, s2, v1 dst_sel:DWORD dst_unused:UNUSED_PAD src0_sel:DWORD src1_sel:WORD_1
	v_mov_b32_e32 v4, 0
	s_waitcnt lgkmcnt(0)
	v_cmp_lt_u64_e64 s[2:3], s[10:11], 2
	v_mov_b32_e32 v7, v4
	s_and_b64 vcc, exec, s[2:3]
	v_mov_b64_e32 v[2:3], 0
	s_cbranch_vccnz .LBB0_8
; %bb.1:
	s_load_dwordx2 s[2:3], s[0:1], 0x10
	s_add_u32 s16, s14, 8
	s_addc_u32 s17, s15, 0
	s_add_u32 s18, s12, 8
	s_addc_u32 s19, s13, 0
	s_waitcnt lgkmcnt(0)
	s_add_u32 s20, s2, 8
	v_mov_b64_e32 v[2:3], 0
	s_addc_u32 s21, s3, 0
	s_mov_b64 s[22:23], 1
	v_mov_b64_e32 v[84:85], v[2:3]
.LBB0_2:                                ; =>This Inner Loop Header: Depth=1
	s_load_dwordx2 s[24:25], s[20:21], 0x0
                                        ; implicit-def: $vgpr88_vgpr89
	s_waitcnt lgkmcnt(0)
	v_or_b32_e32 v5, s25, v7
	v_cmp_ne_u64_e32 vcc, 0, v[4:5]
	s_and_saveexec_b64 s[2:3], vcc
	s_xor_b64 s[26:27], exec, s[2:3]
	s_cbranch_execz .LBB0_4
; %bb.3:                                ;   in Loop: Header=BB0_2 Depth=1
	v_cvt_f32_u32_e32 v1, s24
	v_cvt_f32_u32_e32 v5, s25
	s_sub_u32 s2, 0, s24
	s_subb_u32 s3, 0, s25
	v_fmac_f32_e32 v1, 0x4f800000, v5
	v_rcp_f32_e32 v1, v1
	s_nop 0
	v_mul_f32_e32 v1, 0x5f7ffffc, v1
	v_mul_f32_e32 v5, 0x2f800000, v1
	v_trunc_f32_e32 v5, v5
	v_fmac_f32_e32 v1, 0xcf800000, v5
	v_cvt_u32_f32_e32 v5, v5
	v_cvt_u32_f32_e32 v1, v1
	v_mul_lo_u32 v8, s2, v5
	v_mul_hi_u32 v10, s2, v1
	v_mul_lo_u32 v9, s3, v1
	v_add_u32_e32 v10, v10, v8
	v_mul_lo_u32 v12, s2, v1
	v_add_u32_e32 v13, v10, v9
	v_mul_hi_u32 v8, v1, v12
	v_mul_hi_u32 v11, v1, v13
	v_mul_lo_u32 v10, v1, v13
	v_mov_b32_e32 v9, v4
	v_lshl_add_u64 v[8:9], v[8:9], 0, v[10:11]
	v_mul_hi_u32 v11, v5, v12
	v_mul_lo_u32 v12, v5, v12
	v_add_co_u32_e32 v8, vcc, v8, v12
	v_mul_hi_u32 v10, v5, v13
	s_nop 0
	v_addc_co_u32_e32 v8, vcc, v9, v11, vcc
	v_mov_b32_e32 v9, v4
	s_nop 0
	v_addc_co_u32_e32 v11, vcc, 0, v10, vcc
	v_mul_lo_u32 v10, v5, v13
	v_lshl_add_u64 v[8:9], v[8:9], 0, v[10:11]
	v_add_co_u32_e32 v1, vcc, v1, v8
	v_mul_lo_u32 v10, s2, v1
	s_nop 0
	v_addc_co_u32_e32 v5, vcc, v5, v9, vcc
	v_mul_lo_u32 v8, s2, v5
	v_mul_hi_u32 v9, s2, v1
	v_add_u32_e32 v8, v9, v8
	v_mul_lo_u32 v9, s3, v1
	v_add_u32_e32 v12, v8, v9
	v_mul_hi_u32 v14, v5, v10
	v_mul_lo_u32 v15, v5, v10
	v_mul_hi_u32 v9, v1, v12
	v_mul_lo_u32 v8, v1, v12
	v_mul_hi_u32 v10, v1, v10
	v_mov_b32_e32 v11, v4
	v_lshl_add_u64 v[8:9], v[10:11], 0, v[8:9]
	v_add_co_u32_e32 v8, vcc, v8, v15
	v_mul_hi_u32 v13, v5, v12
	s_nop 0
	v_addc_co_u32_e32 v8, vcc, v9, v14, vcc
	v_mul_lo_u32 v10, v5, v12
	s_nop 0
	v_addc_co_u32_e32 v11, vcc, 0, v13, vcc
	v_mov_b32_e32 v9, v4
	v_lshl_add_u64 v[8:9], v[8:9], 0, v[10:11]
	v_add_co_u32_e32 v1, vcc, v1, v8
	v_mul_hi_u32 v10, v6, v1
	s_nop 0
	v_addc_co_u32_e32 v5, vcc, v5, v9, vcc
	v_mad_u64_u32 v[8:9], s[2:3], v6, v5, 0
	v_mov_b32_e32 v11, v4
	v_lshl_add_u64 v[8:9], v[10:11], 0, v[8:9]
	v_mad_u64_u32 v[12:13], s[2:3], v7, v1, 0
	v_add_co_u32_e32 v1, vcc, v8, v12
	v_mad_u64_u32 v[10:11], s[2:3], v7, v5, 0
	s_nop 0
	v_addc_co_u32_e32 v8, vcc, v9, v13, vcc
	v_mov_b32_e32 v9, v4
	s_nop 0
	v_addc_co_u32_e32 v11, vcc, 0, v11, vcc
	v_lshl_add_u64 v[8:9], v[8:9], 0, v[10:11]
	v_mul_lo_u32 v1, s25, v8
	v_mul_lo_u32 v5, s24, v9
	v_mad_u64_u32 v[10:11], s[2:3], s24, v8, 0
	v_add3_u32 v1, v11, v5, v1
	v_sub_u32_e32 v5, v7, v1
	v_mov_b32_e32 v11, s25
	v_sub_co_u32_e32 v14, vcc, v6, v10
	v_lshl_add_u64 v[12:13], v[8:9], 0, 1
	s_nop 0
	v_subb_co_u32_e64 v5, s[2:3], v5, v11, vcc
	v_subrev_co_u32_e64 v10, s[2:3], s24, v14
	v_subb_co_u32_e32 v1, vcc, v7, v1, vcc
	s_nop 0
	v_subbrev_co_u32_e64 v5, s[2:3], 0, v5, s[2:3]
	v_cmp_le_u32_e64 s[2:3], s25, v5
	v_cmp_le_u32_e32 vcc, s25, v1
	s_nop 0
	v_cndmask_b32_e64 v11, 0, -1, s[2:3]
	v_cmp_le_u32_e64 s[2:3], s24, v10
	s_nop 1
	v_cndmask_b32_e64 v10, 0, -1, s[2:3]
	v_cmp_eq_u32_e64 s[2:3], s25, v5
	s_nop 1
	v_cndmask_b32_e64 v5, v11, v10, s[2:3]
	v_lshl_add_u64 v[10:11], v[8:9], 0, 2
	v_cmp_ne_u32_e64 s[2:3], 0, v5
	s_nop 1
	v_cndmask_b32_e64 v5, v13, v11, s[2:3]
	v_cndmask_b32_e64 v11, 0, -1, vcc
	v_cmp_le_u32_e32 vcc, s24, v14
	s_nop 1
	v_cndmask_b32_e64 v13, 0, -1, vcc
	v_cmp_eq_u32_e32 vcc, s25, v1
	s_nop 1
	v_cndmask_b32_e32 v1, v11, v13, vcc
	v_cmp_ne_u32_e32 vcc, 0, v1
	v_cndmask_b32_e64 v1, v12, v10, s[2:3]
	s_nop 0
	v_cndmask_b32_e32 v89, v9, v5, vcc
	v_cndmask_b32_e32 v88, v8, v1, vcc
.LBB0_4:                                ;   in Loop: Header=BB0_2 Depth=1
	s_andn2_saveexec_b64 s[2:3], s[26:27]
	s_cbranch_execz .LBB0_6
; %bb.5:                                ;   in Loop: Header=BB0_2 Depth=1
	v_cvt_f32_u32_e32 v1, s24
	s_sub_i32 s26, 0, s24
	v_mov_b32_e32 v89, v4
	v_rcp_iflag_f32_e32 v1, v1
	s_nop 0
	v_mul_f32_e32 v1, 0x4f7ffffe, v1
	v_cvt_u32_f32_e32 v1, v1
	v_mul_lo_u32 v5, s26, v1
	v_mul_hi_u32 v5, v1, v5
	v_add_u32_e32 v1, v1, v5
	v_mul_hi_u32 v1, v6, v1
	v_mul_lo_u32 v5, v1, s24
	v_sub_u32_e32 v5, v6, v5
	v_add_u32_e32 v8, 1, v1
	v_subrev_u32_e32 v9, s24, v5
	v_cmp_le_u32_e32 vcc, s24, v5
	s_nop 1
	v_cndmask_b32_e32 v5, v5, v9, vcc
	v_cndmask_b32_e32 v1, v1, v8, vcc
	v_add_u32_e32 v8, 1, v1
	v_cmp_le_u32_e32 vcc, s24, v5
	s_nop 1
	v_cndmask_b32_e32 v88, v1, v8, vcc
.LBB0_6:                                ;   in Loop: Header=BB0_2 Depth=1
	s_or_b64 exec, exec, s[2:3]
	v_mad_u64_u32 v[8:9], s[2:3], v88, s24, 0
	s_load_dwordx2 s[2:3], s[18:19], 0x0
	v_mul_lo_u32 v1, v89, s24
	v_mul_lo_u32 v5, v88, s25
	s_load_dwordx2 s[24:25], s[16:17], 0x0
	s_add_u32 s22, s22, 1
	v_add3_u32 v1, v9, v5, v1
	v_sub_co_u32_e32 v5, vcc, v6, v8
	s_addc_u32 s23, s23, 0
	s_nop 0
	v_subb_co_u32_e32 v1, vcc, v7, v1, vcc
	s_add_u32 s16, s16, 8
	s_waitcnt lgkmcnt(0)
	v_mul_lo_u32 v6, s2, v1
	v_mul_lo_u32 v7, s3, v5
	v_mad_u64_u32 v[2:3], s[2:3], s2, v5, v[2:3]
	s_addc_u32 s17, s17, 0
	v_add3_u32 v3, v7, v3, v6
	v_mul_lo_u32 v1, s24, v1
	v_mul_lo_u32 v6, s25, v5
	v_mad_u64_u32 v[84:85], s[2:3], s24, v5, v[84:85]
	s_add_u32 s18, s18, 8
	v_add3_u32 v85, v6, v85, v1
	s_addc_u32 s19, s19, 0
	v_mov_b64_e32 v[6:7], s[10:11]
	s_add_u32 s20, s20, 8
	v_cmp_ge_u64_e32 vcc, s[22:23], v[6:7]
	s_addc_u32 s21, s21, 0
	s_cbranch_vccnz .LBB0_9
; %bb.7:                                ;   in Loop: Header=BB0_2 Depth=1
	v_mov_b64_e32 v[6:7], v[88:89]
	s_branch .LBB0_2
.LBB0_8:
	v_mov_b64_e32 v[84:85], v[2:3]
	v_mov_b64_e32 v[88:89], v[6:7]
.LBB0_9:
	s_load_dwordx2 s[0:1], s[0:1], 0x28
	s_lshl_b64 s[16:17], s[10:11], 3
	s_add_u32 s2, s14, s16
	s_addc_u32 s3, s15, s17
                                        ; implicit-def: $vgpr86
                                        ; implicit-def: $vgpr90
                                        ; implicit-def: $vgpr98
                                        ; implicit-def: $vgpr96
                                        ; implicit-def: $vgpr94
                                        ; implicit-def: $vgpr92
	s_waitcnt lgkmcnt(0)
	v_cmp_gt_u64_e32 vcc, s[0:1], v[88:89]
	v_cmp_le_u64_e64 s[0:1], s[0:1], v[88:89]
	s_and_saveexec_b64 s[10:11], s[0:1]
	s_xor_b64 s[0:1], exec, s[10:11]
; %bb.10:
	s_mov_b32 s10, 0x5555556
	v_mul_hi_u32 v1, v0, s10
	v_mul_u32_u24_e32 v1, 48, v1
	v_sub_u32_e32 v86, v0, v1
	v_add_u32_e32 v90, 48, v86
	v_add_u32_e32 v98, 0x60, v86
	;; [unrolled: 1-line block ×3, first 2 shown]
	v_or_b32_e32 v94, 0xc0, v86
	v_add_u32_e32 v92, 0xf0, v86
                                        ; implicit-def: $vgpr0
                                        ; implicit-def: $vgpr2_vgpr3
; %bb.11:
	s_andn2_saveexec_b64 s[10:11], s[0:1]
	s_cbranch_execz .LBB0_13
; %bb.12:
	s_add_u32 s0, s12, s16
	s_addc_u32 s1, s13, s17
	s_load_dwordx2 s[0:1], s[0:1], 0x0
	s_mov_b32 s12, 0x5555556
	v_mov_b32_e32 v31, 0
	v_mov_b32_e32 v9, v31
	s_waitcnt lgkmcnt(0)
	v_mul_lo_u32 v1, s1, v88
	v_mul_lo_u32 v6, s0, v89
	v_mad_u64_u32 v[4:5], s[0:1], s0, v88, 0
	v_add3_u32 v5, v5, v6, v1
	v_mul_hi_u32 v1, v0, s12
	v_mul_u32_u24_e32 v1, 48, v1
	v_sub_u32_e32 v86, v0, v1
	v_lshl_add_u64 v[0:1], v[4:5], 4, s[4:5]
	v_lshl_add_u64 v[28:29], v[2:3], 4, v[0:1]
	v_lshlrev_b32_e32 v30, 4, v86
	v_lshl_add_u64 v[32:33], v[28:29], 0, v[30:31]
	s_movk_i32 s0, 0x1000
	v_add_co_u32_e64 v64, s[0:1], s0, v32
	s_movk_i32 s4, 0x2000
	v_or_b32_e32 v8, 0x1800, v30
	v_addc_co_u32_e64 v65, s[0:1], 0, v33, s[0:1]
	v_add_u32_e32 v70, 0, v30
	v_lshl_add_u64 v[24:25], v[28:29], 0, v[8:9]
	v_or_b32_e32 v30, 0x2400, v30
	v_add_co_u32_e64 v66, s[0:1], s4, v32
	global_load_dwordx4 v[0:3], v[32:33], off
	global_load_dwordx4 v[4:7], v[32:33], off offset:768
	global_load_dwordx4 v[8:11], v[32:33], off offset:1536
	global_load_dwordx4 v[12:15], v[32:33], off offset:2304
	global_load_dwordx4 v[16:19], v[32:33], off offset:3072
	global_load_dwordx4 v[20:23], v[32:33], off offset:3840
	v_addc_co_u32_e64 v67, s[0:1], 0, v33, s[0:1]
	global_load_dwordx4 v[24:27], v[24:25], off
	v_lshl_add_u64 v[68:69], v[28:29], 0, v[30:31]
	global_load_dwordx4 v[28:31], v[64:65], off offset:512
	global_load_dwordx4 v[32:35], v[64:65], off offset:1280
	;; [unrolled: 1-line block ×5, first 2 shown]
	global_load_dwordx4 v[48:51], v[68:69], off
	global_load_dwordx4 v[52:55], v[66:67], off offset:1792
	global_load_dwordx4 v[56:59], v[66:67], off offset:2560
	;; [unrolled: 1-line block ×3, first 2 shown]
	v_add_u32_e32 v90, 48, v86
	v_add_u32_e32 v98, 0x60, v86
	;; [unrolled: 1-line block ×3, first 2 shown]
	v_or_b32_e32 v94, 0xc0, v86
	v_add_u32_e32 v92, 0xf0, v86
	s_waitcnt vmcnt(15)
	ds_write_b128 v70, v[0:3]
	s_waitcnt vmcnt(14)
	ds_write_b128 v70, v[4:7] offset:768
	s_waitcnt vmcnt(13)
	ds_write_b128 v70, v[8:11] offset:1536
	;; [unrolled: 2-line block ×15, first 2 shown]
.LBB0_13:
	s_or_b64 exec, exec, s[10:11]
	v_lshl_add_u32 v108, v86, 4, 0
	s_load_dwordx2 s[2:3], s[2:3], 0x0
	s_waitcnt lgkmcnt(0)
	; wave barrier
	s_waitcnt lgkmcnt(0)
	ds_read_b128 v[0:3], v108
	ds_read_b128 v[4:7], v108 offset:768
	ds_read_b128 v[8:11], v108 offset:1536
	;; [unrolled: 1-line block ×9, first 2 shown]
	s_waitcnt lgkmcnt(5)
	v_add_f64 v[12:13], v[0:1], -v[12:13]
	v_add_f64 v[14:15], v[2:3], -v[14:15]
	v_fma_f64 v[16:17], v[0:1], 2.0, -v[12:13]
	v_fma_f64 v[62:63], v[2:3], 2.0, -v[14:15]
	ds_read_b128 v[0:3], v108 offset:7680
	ds_read_b128 v[50:53], v108 offset:8448
	s_waitcnt lgkmcnt(3)
	v_add_f64 v[30:31], v[22:23], -v[42:43]
	v_add_f64 v[18:19], v[20:21], -v[40:41]
	v_fma_f64 v[64:65], v[22:23], 2.0, -v[30:31]
	s_waitcnt lgkmcnt(1)
	v_add_f64 v[22:23], v[8:9], -v[0:1]
	v_add_f64 v[24:25], v[10:11], -v[2:3]
	ds_read_b128 v[0:3], v108 offset:10752
	ds_read_b128 v[40:43], v108 offset:4608
	v_fma_f64 v[66:67], v[8:9], 2.0, -v[22:23]
	v_fma_f64 v[68:69], v[10:11], 2.0, -v[24:25]
	ds_read_b128 v[8:11], v108 offset:5376
	ds_read_b128 v[58:61], v108 offset:11520
	v_add_f64 v[46:47], v[38:39], -v[46:47]
	s_waitcnt lgkmcnt(2)
	v_add_f64 v[48:49], v[40:41], -v[0:1]
	v_add_f64 v[56:57], v[42:43], -v[2:3]
	v_fma_f64 v[0:1], v[40:41], 2.0, -v[48:49]
	v_add_f64 v[40:41], v[36:37], -v[44:45]
	v_fma_f64 v[20:21], v[20:21], 2.0, -v[18:19]
	v_fma_f64 v[2:3], v[42:43], 2.0, -v[56:57]
	v_add_f64 v[32:33], v[4:5], -v[32:33]
	v_add_f64 v[34:35], v[6:7], -v[34:35]
	v_fma_f64 v[42:43], v[36:37], 2.0, -v[40:41]
	v_fma_f64 v[44:45], v[38:39], 2.0, -v[46:47]
	v_add_f64 v[36:37], v[26:27], -v[50:51]
	v_add_f64 v[38:39], v[28:29], -v[52:53]
	s_waitcnt lgkmcnt(0)
	v_add_f64 v[54:55], v[8:9], -v[58:59]
	v_add_f64 v[72:73], v[10:11], -v[60:61]
	v_fma_f64 v[4:5], v[4:5], 2.0, -v[32:33]
	v_fma_f64 v[6:7], v[6:7], 2.0, -v[34:35]
	;; [unrolled: 1-line block ×6, first 2 shown]
	v_add_f64 v[8:9], v[16:17], -v[20:21]
	v_add_f64 v[10:11], v[62:63], -v[64:65]
	v_fma_f64 v[60:61], v[16:17], 2.0, -v[8:9]
	v_add_f64 v[16:17], v[66:67], -v[0:1]
	v_add_f64 v[20:21], v[68:69], -v[2:3]
	v_add_f64 v[26:27], v[4:5], -v[42:43]
	v_add_f64 v[28:29], v[6:7], -v[44:45]
	v_add_f64 v[42:43], v[52:53], -v[50:51]
	v_add_f64 v[50:51], v[70:71], -v[58:59]
	v_fma_f64 v[62:63], v[62:63], 2.0, -v[10:11]
	v_fma_f64 v[0:1], v[66:67], 2.0, -v[16:17]
	;; [unrolled: 1-line block ×7, first 2 shown]
	v_add_f64 v[0:1], v[60:61], -v[0:1]
	v_add_f64 v[2:3], v[62:63], -v[2:3]
	;; [unrolled: 1-line block ×4, first 2 shown]
	v_fma_f64 v[58:59], v[60:61], 2.0, -v[0:1]
	v_fma_f64 v[60:61], v[62:63], 2.0, -v[2:3]
	;; [unrolled: 1-line block ×4, first 2 shown]
	v_add_f64 v[4:5], v[58:59], -v[4:5]
	v_add_f64 v[6:7], v[60:61], -v[6:7]
	s_movk_i32 s0, 0xf0
	v_fma_f64 v[58:59], v[58:59], 2.0, -v[4:5]
	v_fma_f64 v[60:61], v[60:61], 2.0, -v[6:7]
	v_mad_u32_u24 v87, v86, s0, v108
	s_waitcnt lgkmcnt(0)
	; wave barrier
	ds_write_b128 v87, v[58:61]
	v_add_f64 v[58:59], v[14:15], v[18:19]
	v_add_f64 v[56:57], v[22:23], -v[56:57]
	v_add_f64 v[48:49], v[24:25], v[48:49]
	s_mov_b32 s0, 0x667f3bcd
	v_add_f64 v[30:31], v[12:13], -v[30:31]
	v_fma_f64 v[14:15], v[14:15], 2.0, -v[58:59]
	v_fma_f64 v[18:19], v[22:23], 2.0, -v[56:57]
	;; [unrolled: 1-line block ×3, first 2 shown]
	s_mov_b32 s1, 0xbfe6a09e
	v_fma_f64 v[12:13], v[12:13], 2.0, -v[30:31]
	v_fma_f64 v[62:63], s[0:1], v[22:23], v[14:15]
	s_mov_b32 s5, 0x3fe6a09e
	s_mov_b32 s4, s0
	v_add_f64 v[46:47], v[32:33], -v[46:47]
	v_fma_f64 v[60:61], s[0:1], v[18:19], v[12:13]
	v_fmac_f64_e32 v[62:63], s[4:5], v[18:19]
	v_add_f64 v[40:41], v[34:35], v[40:41]
	v_fma_f64 v[18:19], v[32:33], 2.0, -v[46:47]
	v_add_f64 v[32:33], v[36:37], -v[72:73]
	v_fmac_f64_e32 v[60:61], s[0:1], v[22:23]
	v_fma_f64 v[22:23], v[34:35], 2.0, -v[40:41]
	v_add_f64 v[34:35], v[38:39], v[54:55]
	v_fma_f64 v[24:25], v[36:37], 2.0, -v[32:33]
	v_fma_f64 v[36:37], v[38:39], 2.0, -v[34:35]
	v_fma_f64 v[38:39], s[0:1], v[24:25], v[18:19]
	v_fmac_f64_e32 v[38:39], s[0:1], v[36:37]
	v_fma_f64 v[36:37], s[0:1], v[36:37], v[22:23]
	v_fmac_f64_e32 v[36:37], s[4:5], v[24:25]
	s_mov_b32 s10, 0xcf328d46
	v_fma_f64 v[24:25], v[12:13], 2.0, -v[60:61]
	v_fma_f64 v[54:55], v[14:15], 2.0, -v[62:63]
	;; [unrolled: 1-line block ×4, first 2 shown]
	s_mov_b32 s11, 0xbfed906b
	s_mov_b32 s12, 0xa6aea964
	v_fma_f64 v[12:13], s[10:11], v[18:19], v[24:25]
	v_fma_f64 v[14:15], s[10:11], v[22:23], v[54:55]
	s_mov_b32 s13, 0xbfd87de2
	s_mov_b32 s15, 0x3fd87de2
	;; [unrolled: 1-line block ×3, first 2 shown]
	v_fmac_f64_e32 v[12:13], s[12:13], v[22:23]
	v_fmac_f64_e32 v[14:15], s[14:15], v[18:19]
	v_fma_f64 v[22:23], v[24:25], 2.0, -v[12:13]
	v_fma_f64 v[24:25], v[54:55], 2.0, -v[14:15]
	v_add_f64 v[54:55], v[8:9], -v[20:21]
	v_add_f64 v[64:65], v[10:11], v[16:17]
	v_add_f64 v[50:51], v[26:27], -v[50:51]
	v_add_f64 v[42:43], v[28:29], v[42:43]
	v_fma_f64 v[66:67], s[4:5], v[56:57], v[30:31]
	ds_write_b128 v87, v[22:25] offset:16
	v_fma_f64 v[16:17], v[8:9], 2.0, -v[54:55]
	v_fma_f64 v[18:19], v[10:11], 2.0, -v[64:65]
	;; [unrolled: 1-line block ×4, first 2 shown]
	v_fmac_f64_e32 v[66:67], s[0:1], v[48:49]
	v_fma_f64 v[48:49], s[4:5], v[48:49], v[58:59]
	v_fma_f64 v[8:9], s[0:1], v[20:21], v[16:17]
	;; [unrolled: 1-line block ×3, first 2 shown]
	v_fmac_f64_e32 v[48:49], s[4:5], v[56:57]
	v_fma_f64 v[56:57], s[4:5], v[32:33], v[46:47]
	v_fma_f64 v[68:69], s[4:5], v[34:35], v[40:41]
	v_fmac_f64_e32 v[8:9], s[0:1], v[22:23]
	v_fmac_f64_e32 v[10:11], s[4:5], v[20:21]
	;; [unrolled: 1-line block ×4, first 2 shown]
	v_fma_f64 v[16:17], v[16:17], 2.0, -v[8:9]
	v_fma_f64 v[18:19], v[18:19], 2.0, -v[10:11]
	;; [unrolled: 1-line block ×6, first 2 shown]
	ds_write_b128 v87, v[16:19] offset:32
	v_fma_f64 v[16:17], s[12:13], v[24:25], v[20:21]
	v_fma_f64 v[18:19], s[12:13], v[26:27], v[22:23]
	s_mov_b32 s17, 0x3fed906b
	s_mov_b32 s16, s10
	v_fmac_f64_e32 v[16:17], s[10:11], v[26:27]
	v_fmac_f64_e32 v[18:19], s[16:17], v[24:25]
	v_fma_f64 v[20:21], v[20:21], 2.0, -v[16:17]
	v_fma_f64 v[22:23], v[22:23], 2.0, -v[18:19]
	ds_write_b128 v87, v[20:23] offset:48
	v_add_f64 v[20:21], v[0:1], -v[52:53]
	v_add_f64 v[22:23], v[2:3], v[44:45]
	v_fma_f64 v[0:1], v[0:1], 2.0, -v[20:21]
	v_fma_f64 v[2:3], v[2:3], 2.0, -v[22:23]
	v_fma_f64 v[24:25], s[14:15], v[38:39], v[60:61]
	v_fma_f64 v[26:27], s[14:15], v[36:37], v[62:63]
	ds_write_b128 v87, v[0:3] offset:64
	v_fmac_f64_e32 v[24:25], s[10:11], v[36:37]
	v_fmac_f64_e32 v[26:27], s[16:17], v[38:39]
	v_fma_f64 v[32:33], s[4:5], v[50:51], v[54:55]
	v_fma_f64 v[34:35], s[4:5], v[42:43], v[64:65]
	;; [unrolled: 1-line block ×4, first 2 shown]
	v_fma_f64 v[28:29], v[60:61], 2.0, -v[24:25]
	v_fma_f64 v[30:31], v[62:63], 2.0, -v[26:27]
	v_fmac_f64_e32 v[32:33], s[0:1], v[42:43]
	v_fmac_f64_e32 v[34:35], s[4:5], v[50:51]
	;; [unrolled: 1-line block ×4, first 2 shown]
	v_lshl_add_u32 v112, v98, 4, 0
	v_fma_f64 v[36:37], v[54:55], 2.0, -v[32:33]
	v_fma_f64 v[38:39], v[64:65], 2.0, -v[34:35]
	;; [unrolled: 1-line block ×4, first 2 shown]
	ds_write_b128 v87, v[28:31] offset:80
	ds_write_b128 v87, v[36:39] offset:96
	;; [unrolled: 1-line block ×11, first 2 shown]
	s_waitcnt lgkmcnt(0)
	; wave barrier
	s_waitcnt lgkmcnt(0)
	ds_read_b128 v[24:27], v108
	ds_read_b128 v[64:67], v108 offset:4096
	v_lshl_add_u32 v93, v90, 4, 0
	ds_read_b128 v[48:51], v108 offset:8192
	ds_read_b128 v[44:47], v108 offset:8960
	;; [unrolled: 1-line block ×4, first 2 shown]
	v_lshl_add_u32 v111, v96, 4, 0
	ds_read_b128 v[20:23], v112
	ds_read_b128 v[16:19], v111
	v_lshl_add_u32 v110, v94, 4, 0
	ds_read_b128 v[60:63], v108 offset:9728
	ds_read_b128 v[52:55], v108 offset:10496
	ds_read_b128 v[12:15], v110
	ds_read_b128 v[80:83], v108 offset:6400
	ds_read_b128 v[76:79], v108 offset:7168
	ds_read_b128 v[28:31], v93
	ds_read_b128 v[56:59], v108 offset:11264
	v_cmp_gt_u32_e64 s[0:1], 16, v86
	v_lshl_add_u32 v109, v92, 4, 0
                                        ; implicit-def: $vgpr6_vgpr7
                                        ; implicit-def: $vgpr10_vgpr11
	s_and_saveexec_b64 s[4:5], s[0:1]
	s_cbranch_execz .LBB0_15
; %bb.14:
	s_movk_i32 s10, 0xff10
	v_mad_i32_i24 v4, v86, s10, v87
	ds_read_b128 v[0:3], v109
	ds_read_b128 v[8:11], v4 offset:7936
	ds_read_b128 v[4:7], v4 offset:12032
.LBB0_15:
	s_or_b64 exec, exec, s[4:5]
	v_lshlrev_b32_e32 v32, 5, v86
	v_and_b32_e32 v100, 0x1e0, v32
	global_load_dwordx4 v[36:39], v100, s[8:9]
	v_and_b32_e32 v87, 15, v86
	v_lshlrev_b32_e32 v91, 5, v87
	global_load_dwordx2 v[104:105], v91, s[8:9]
	global_load_dwordx4 v[32:35], v100, s[8:9] offset:16
	global_load_dwordx4 v[40:43], v100, s[8:9] offset:8
	s_mov_b32 s4, 0xe8584caa
	s_mov_b32 s5, 0x3febb67a
	;; [unrolled: 1-line block ×4, first 2 shown]
	s_waitcnt lgkmcnt(0)
	; wave barrier
	s_waitcnt vmcnt(3) lgkmcnt(0)
	v_mul_f64 v[102:103], v[66:67], v[38:39]
	v_mul_f64 v[114:115], v[64:65], v[38:39]
	s_waitcnt vmcnt(2)
	v_fma_f64 v[116:117], v[64:65], v[104:105], -v[102:103]
	v_mul_f64 v[64:65], v[74:75], v[38:39]
	v_mul_f64 v[102:103], v[68:69], v[38:39]
	v_fmac_f64_e32 v[114:115], v[66:67], v[104:105]
	v_mul_f64 v[118:119], v[72:73], v[38:39]
	v_fma_f64 v[72:73], v[72:73], v[104:105], -v[64:65]
	v_mul_f64 v[64:65], v[70:71], v[38:39]
	v_fmac_f64_e32 v[102:103], v[70:71], v[104:105]
	v_mul_f64 v[66:67], v[80:81], v[38:39]
	v_mul_f64 v[70:71], v[78:79], v[38:39]
	v_fmac_f64_e32 v[118:119], v[74:75], v[104:105]
	v_fma_f64 v[68:69], v[68:69], v[104:105], -v[64:65]
	v_mul_f64 v[64:65], v[82:83], v[38:39]
	v_fmac_f64_e32 v[66:67], v[82:83], v[104:105]
	v_mul_f64 v[82:83], v[76:77], v[38:39]
	v_fma_f64 v[38:39], v[76:77], v[104:105], -v[70:71]
	s_waitcnt vmcnt(1)
	v_mul_f64 v[70:71], v[50:51], v[34:35]
	v_mul_f64 v[74:75], v[48:49], v[34:35]
	;; [unrolled: 1-line block ×3, first 2 shown]
	s_waitcnt vmcnt(0)
	v_fma_f64 v[70:71], v[48:49], v[42:43], -v[70:71]
	v_fmac_f64_e32 v[74:75], v[50:51], v[42:43]
	v_mul_f64 v[50:51], v[44:45], v[34:35]
	v_mul_f64 v[48:49], v[62:63], v[34:35]
	v_fma_f64 v[64:65], v[80:81], v[104:105], -v[64:65]
	v_fmac_f64_e32 v[82:83], v[78:79], v[104:105]
	v_fma_f64 v[76:77], v[44:45], v[42:43], -v[76:77]
	v_fmac_f64_e32 v[50:51], v[46:47], v[42:43]
	v_mul_f64 v[80:81], v[60:61], v[34:35]
	v_mul_f64 v[44:45], v[54:55], v[34:35]
	v_fma_f64 v[78:79], v[60:61], v[42:43], -v[48:49]
	v_mul_f64 v[106:107], v[52:53], v[34:35]
	v_mul_f64 v[46:47], v[58:59], v[34:35]
	;; [unrolled: 1-line block ×3, first 2 shown]
	v_fmac_f64_e32 v[80:81], v[62:63], v[42:43]
	v_fma_f64 v[104:105], v[52:53], v[42:43], -v[44:45]
	v_fmac_f64_e32 v[106:107], v[54:55], v[42:43]
	v_fma_f64 v[34:35], v[56:57], v[42:43], -v[46:47]
	v_fmac_f64_e32 v[60:61], v[58:59], v[42:43]
	v_add_f64 v[42:43], v[24:25], v[116:117]
	v_add_f64 v[44:45], v[26:27], v[114:115]
	;; [unrolled: 1-line block ×6, first 2 shown]
	v_add_f64 v[58:59], v[116:117], -v[70:71]
	v_add_f64 v[62:63], v[118:119], -v[50:51]
	v_add_f64 v[70:71], v[118:119], v[50:51]
	v_add_f64 v[44:45], v[42:43], v[50:51]
	;; [unrolled: 1-line block ×3, first 2 shown]
	v_add_f64 v[52:53], v[114:115], -v[74:75]
	v_add_f64 v[42:43], v[28:29], v[72:73]
	v_fmac_f64_e32 v[24:25], -0.5, v[56:57]
	v_fmac_f64_e32 v[28:29], -0.5, v[50:51]
	v_add_f64 v[50:51], v[68:69], v[78:79]
	v_add_f64 v[54:55], v[114:115], v[74:75]
	;; [unrolled: 1-line block ×3, first 2 shown]
	v_fmac_f64_e32 v[20:21], -0.5, v[50:51]
	v_fma_f64 v[74:75], s[4:5], v[52:53], v[24:25]
	v_fmac_f64_e32 v[24:25], s[10:11], v[52:53]
	v_add_f64 v[52:53], v[102:103], -v[80:81]
	v_add_f64 v[72:73], v[72:73], -v[76:77]
	v_fmac_f64_e32 v[30:31], -0.5, v[70:71]
	v_fma_f64 v[50:51], s[4:5], v[52:53], v[20:21]
	v_fmac_f64_e32 v[20:21], s[10:11], v[52:53]
	v_add_f64 v[52:53], v[22:23], v[102:103]
	v_fmac_f64_e32 v[26:27], -0.5, v[54:55]
	v_fma_f64 v[56:57], s[10:11], v[72:73], v[30:31]
	v_fmac_f64_e32 v[30:31], s[4:5], v[72:73]
	v_add_f64 v[72:73], v[52:53], v[80:81]
	v_add_f64 v[52:53], v[102:103], v[80:81]
	;; [unrolled: 1-line block ×3, first 2 shown]
	v_fma_f64 v[76:77], s[10:11], v[58:59], v[26:27]
	v_fmac_f64_e32 v[26:27], s[4:5], v[58:59]
	v_fmac_f64_e32 v[22:23], -0.5, v[52:53]
	v_add_f64 v[58:59], v[68:69], -v[78:79]
	v_fma_f64 v[52:53], s[10:11], v[58:59], v[22:23]
	v_fmac_f64_e32 v[22:23], s[4:5], v[58:59]
	v_add_f64 v[58:59], v[16:17], v[64:65]
	v_add_f64 v[70:71], v[114:115], v[78:79]
	;; [unrolled: 1-line block ×6, first 2 shown]
	v_fma_f64 v[54:55], s[4:5], v[62:63], v[28:29]
	v_fmac_f64_e32 v[28:29], s[10:11], v[62:63]
	v_add_f64 v[62:63], v[64:65], v[104:105]
	v_fmac_f64_e32 v[18:19], -0.5, v[58:59]
	v_add_f64 v[58:59], v[64:65], -v[104:105]
	v_fmac_f64_e32 v[16:17], -0.5, v[62:63]
	v_add_f64 v[68:69], v[66:67], -v[106:107]
	v_fma_f64 v[64:65], s[10:11], v[58:59], v[18:19]
	v_fmac_f64_e32 v[18:19], s[4:5], v[58:59]
	v_add_f64 v[58:59], v[38:39], v[34:35]
	v_fma_f64 v[62:63], s[4:5], v[68:69], v[16:17]
	v_fmac_f64_e32 v[16:17], s[10:11], v[68:69]
	v_add_f64 v[66:67], v[12:13], v[38:39]
	v_fmac_f64_e32 v[12:13], -0.5, v[58:59]
	v_add_f64 v[68:69], v[82:83], -v[60:61]
	v_fma_f64 v[58:59], s[4:5], v[68:69], v[12:13]
	v_fmac_f64_e32 v[12:13], s[10:11], v[68:69]
	v_add_f64 v[68:69], v[14:15], v[82:83]
	v_add_f64 v[68:69], v[68:69], v[60:61]
	;; [unrolled: 1-line block ×4, first 2 shown]
	v_fmac_f64_e32 v[14:15], -0.5, v[60:61]
	v_add_f64 v[34:35], v[38:39], -v[34:35]
	v_fma_f64 v[60:61], s[10:11], v[34:35], v[14:15]
	v_fmac_f64_e32 v[14:15], s[4:5], v[34:35]
	v_lshrrev_b32_e32 v34, 4, v86
	v_mul_u32_u24_e32 v34, 48, v34
	v_or_b32_e32 v34, v34, v87
	v_lshl_add_u32 v34, v34, 4, 0
	ds_write_b128 v34, v[46:49]
	ds_write_b128 v34, v[74:77] offset:256
	ds_write_b128 v34, v[24:27] offset:512
	v_lshrrev_b32_e32 v24, 4, v90
	v_mul_lo_u32 v24, v24, 48
	v_or_b32_e32 v24, v24, v87
	v_lshl_add_u32 v24, v24, 4, 0
	ds_write_b128 v24, v[42:45]
	ds_write_b128 v24, v[54:57] offset:256
	ds_write_b128 v24, v[28:31] offset:512
	v_lshrrev_b32_e32 v24, 4, v98
	v_mul_lo_u32 v24, v24, 48
	v_or_b32_e32 v24, v24, v87
	v_lshl_add_u32 v24, v24, 4, 0
	ds_write_b128 v24, v[70:73]
	ds_write_b128 v24, v[50:53] offset:256
	ds_write_b128 v24, v[20:23] offset:512
	v_lshrrev_b32_e32 v20, 4, v96
	v_mul_lo_u32 v20, v20, 48
	v_or_b32_e32 v20, v20, v87
	v_lshl_add_u32 v20, v20, 4, 0
	ds_write_b128 v20, v[78:81]
	ds_write_b128 v20, v[62:65] offset:256
	ds_write_b128 v20, v[16:19] offset:512
	v_lshrrev_b32_e32 v16, 4, v94
	v_mul_lo_u32 v16, v16, 48
	v_or_b32_e32 v16, v16, v87
	v_lshl_add_u32 v16, v16, 4, 0
	ds_write_b128 v16, v[66:69]
	ds_write_b128 v16, v[58:61] offset:256
	ds_write_b128 v16, v[12:15] offset:512
	s_and_saveexec_b64 s[12:13], s[0:1]
	s_cbranch_execz .LBB0_17
; %bb.16:
	v_mov_b32_e32 v101, 0
	v_lshl_add_u64 v[12:13], s[8:9], 0, v[100:101]
	v_lshl_add_u64 v[12:13], v[12:13], 0, 16
	global_load_dwordx2 v[12:13], v[12:13], off offset:8
	v_mul_f64 v[14:15], v[10:11], v[40:41]
	v_mul_f64 v[16:17], v[8:9], v[40:41]
	v_fma_f64 v[8:9], v[8:9], v[36:37], -v[14:15]
	v_fmac_f64_e32 v[16:17], v[10:11], v[36:37]
	v_add_f64 v[10:11], v[2:3], v[16:17]
	v_add_f64 v[14:15], v[0:1], v[8:9]
	s_waitcnt vmcnt(0)
	v_mul_f64 v[18:19], v[6:7], v[12:13]
	v_mul_f64 v[12:13], v[4:5], v[12:13]
	v_fma_f64 v[4:5], v[4:5], v[32:33], -v[18:19]
	v_fmac_f64_e32 v[12:13], v[6:7], v[32:33]
	v_add_f64 v[18:19], v[8:9], -v[4:5]
	v_add_f64 v[20:21], v[16:17], v[12:13]
	v_add_f64 v[8:9], v[8:9], v[4:5]
	;; [unrolled: 1-line block ×3, first 2 shown]
	v_add_f64 v[10:11], v[16:17], -v[12:13]
	v_add_f64 v[4:5], v[14:15], v[4:5]
	v_fma_f64 v[2:3], -0.5, v[20:21], v[2:3]
	v_fma_f64 v[0:1], -0.5, v[8:9], v[0:1]
	ds_write_b128 v108, v[4:7] offset:11520
	v_fma_f64 v[6:7], s[4:5], v[18:19], v[2:3]
	v_fmac_f64_e32 v[2:3], s[10:11], v[18:19]
	v_fma_f64 v[4:5], s[10:11], v[10:11], v[0:1]
	v_fmac_f64_e32 v[0:1], s[4:5], v[10:11]
	ds_write_b128 v108, v[0:3] offset:11776
	ds_write_b128 v108, v[4:7] offset:12032
.LBB0_17:
	s_or_b64 exec, exec, s[12:13]
	v_mul_u32_u24_e32 v48, 15, v86
	v_lshlrev_b32_e32 v87, 4, v48
	s_waitcnt lgkmcnt(0)
	; wave barrier
	s_waitcnt lgkmcnt(0)
	ds_read_b128 v[0:3], v108
	ds_read_b128 v[50:53], v93
	;; [unrolled: 1-line block ×6, first 2 shown]
	ds_read_b128 v[40:43], v108 offset:4608
	ds_read_b128 v[36:39], v108 offset:5376
	;; [unrolled: 1-line block ×10, first 2 shown]
	global_load_dwordx4 v[70:73], v87, s[8:9] offset:560
	global_load_dwordx4 v[74:77], v87, s[8:9] offset:544
	;; [unrolled: 1-line block ×4, first 2 shown]
	s_mov_b32 s0, 0x667f3bcd
	s_mov_b32 s1, 0xbfe6a09e
	;; [unrolled: 1-line block ×10, first 2 shown]
	s_waitcnt vmcnt(0) lgkmcnt(14)
	v_mul_f64 v[48:49], v[52:53], v[56:57]
	v_fma_f64 v[48:49], v[50:51], v[54:55], -v[48:49]
	v_mul_f64 v[50:51], v[50:51], v[56:57]
	v_fmac_f64_e32 v[50:51], v[52:53], v[54:55]
	s_waitcnt lgkmcnt(13)
	v_mul_f64 v[52:53], v[60:61], v[80:81]
	v_fma_f64 v[56:57], v[58:59], v[78:79], -v[52:53]
	v_mul_f64 v[58:59], v[58:59], v[80:81]
	s_waitcnt lgkmcnt(12)
	v_mul_f64 v[52:53], v[64:65], v[76:77]
	v_fmac_f64_e32 v[58:59], v[60:61], v[78:79]
	v_fma_f64 v[52:53], v[62:63], v[74:75], -v[52:53]
	v_mul_f64 v[54:55], v[62:63], v[76:77]
	s_waitcnt lgkmcnt(11)
	v_mul_f64 v[60:61], v[68:69], v[72:73]
	v_mul_f64 v[62:63], v[66:67], v[72:73]
	v_fmac_f64_e32 v[54:55], v[64:65], v[74:75]
	v_fma_f64 v[60:61], v[66:67], v[70:71], -v[60:61]
	v_fmac_f64_e32 v[62:63], v[68:69], v[70:71]
	global_load_dwordx4 v[68:71], v87, s[8:9] offset:624
	global_load_dwordx4 v[72:75], v87, s[8:9] offset:608
	;; [unrolled: 1-line block ×4, first 2 shown]
	s_waitcnt vmcnt(1) lgkmcnt(9)
	v_mul_f64 v[66:67], v[40:41], v[78:79]
	s_waitcnt vmcnt(0)
	v_mul_f64 v[64:65], v[46:47], v[82:83]
	v_fma_f64 v[64:65], v[44:45], v[80:81], -v[64:65]
	v_mul_f64 v[44:45], v[44:45], v[82:83]
	v_fmac_f64_e32 v[44:45], v[46:47], v[80:81]
	v_mul_f64 v[46:47], v[42:43], v[78:79]
	v_fma_f64 v[46:47], v[40:41], v[76:77], -v[46:47]
	s_waitcnt lgkmcnt(8)
	v_mul_f64 v[40:41], v[38:39], v[74:75]
	v_fma_f64 v[40:41], v[36:37], v[72:73], -v[40:41]
	v_mul_f64 v[36:37], v[36:37], v[74:75]
	v_fmac_f64_e32 v[36:37], v[38:39], v[72:73]
	s_waitcnt lgkmcnt(7)
	v_mul_f64 v[38:39], v[34:35], v[70:71]
	v_fma_f64 v[38:39], v[32:33], v[68:69], -v[38:39]
	v_mul_f64 v[32:33], v[32:33], v[70:71]
	v_fmac_f64_e32 v[66:67], v[42:43], v[76:77]
	v_fmac_f64_e32 v[32:33], v[34:35], v[68:69]
	global_load_dwordx4 v[68:71], v87, s[8:9] offset:688
	global_load_dwordx4 v[72:75], v87, s[8:9] offset:672
	;; [unrolled: 1-line block ×4, first 2 shown]
	s_waitcnt vmcnt(1) lgkmcnt(5)
	v_mul_f64 v[42:43], v[24:25], v[78:79]
	s_waitcnt vmcnt(0)
	v_mul_f64 v[34:35], v[30:31], v[82:83]
	v_fma_f64 v[34:35], v[28:29], v[80:81], -v[34:35]
	v_mul_f64 v[28:29], v[28:29], v[82:83]
	v_fmac_f64_e32 v[28:29], v[30:31], v[80:81]
	v_mul_f64 v[30:31], v[26:27], v[78:79]
	v_fma_f64 v[30:31], v[24:25], v[76:77], -v[30:31]
	s_waitcnt lgkmcnt(4)
	v_mul_f64 v[24:25], v[22:23], v[74:75]
	v_fma_f64 v[24:25], v[20:21], v[72:73], -v[24:25]
	v_mul_f64 v[20:21], v[20:21], v[74:75]
	v_fmac_f64_e32 v[42:43], v[26:27], v[76:77]
	v_fmac_f64_e32 v[20:21], v[22:23], v[72:73]
	s_waitcnt lgkmcnt(3)
	v_mul_f64 v[22:23], v[18:19], v[70:71]
	v_mul_f64 v[26:27], v[16:17], v[70:71]
	v_fma_f64 v[22:23], v[16:17], v[68:69], -v[22:23]
	v_fmac_f64_e32 v[26:27], v[18:19], v[68:69]
	global_load_dwordx4 v[16:19], v87, s[8:9] offset:736
	global_load_dwordx4 v[68:71], v87, s[8:9] offset:720
	;; [unrolled: 1-line block ×3, first 2 shown]
	v_add_f64 v[30:31], v[56:57], -v[30:31]
	v_add_f64 v[34:35], v[48:49], -v[34:35]
	;; [unrolled: 1-line block ×5, first 2 shown]
	v_fma_f64 v[48:49], v[48:49], 2.0, -v[34:35]
	v_fma_f64 v[50:51], v[50:51], 2.0, -v[28:29]
	;; [unrolled: 1-line block ×4, first 2 shown]
	s_waitcnt lgkmcnt(0)
	; wave barrier
	s_waitcnt vmcnt(0) lgkmcnt(0)
	v_mul_f64 v[76:77], v[14:15], v[74:75]
	v_fma_f64 v[76:77], v[12:13], v[72:73], -v[76:77]
	v_mul_f64 v[12:13], v[12:13], v[74:75]
	v_fmac_f64_e32 v[12:13], v[14:15], v[72:73]
	v_mul_f64 v[14:15], v[10:11], v[70:71]
	v_fma_f64 v[14:15], v[8:9], v[68:69], -v[14:15]
	v_mul_f64 v[8:9], v[8:9], v[70:71]
	v_fmac_f64_e32 v[8:9], v[10:11], v[68:69]
	v_mul_f64 v[10:11], v[6:7], v[18:19]
	v_fma_f64 v[10:11], v[4:5], v[16:17], -v[10:11]
	v_mul_f64 v[4:5], v[4:5], v[18:19]
	v_fmac_f64_e32 v[4:5], v[6:7], v[16:17]
	v_add_f64 v[18:19], v[60:61], -v[22:23]
	v_add_f64 v[6:7], v[0:1], -v[38:39]
	;; [unrolled: 1-line block ×4, first 2 shown]
	v_fma_f64 v[26:27], v[60:61], 2.0, -v[18:19]
	v_add_f64 v[38:39], v[58:59], -v[42:43]
	v_add_f64 v[14:15], v[46:47], -v[14:15]
	;; [unrolled: 1-line block ×7, first 2 shown]
	v_fma_f64 v[0:1], v[0:1], 2.0, -v[6:7]
	v_fma_f64 v[2:3], v[2:3], 2.0, -v[16:17]
	;; [unrolled: 1-line block ×11, first 2 shown]
	v_add_f64 v[26:27], v[0:1], -v[26:27]
	v_add_f64 v[32:33], v[2:3], -v[32:33]
	;; [unrolled: 1-line block ×8, first 2 shown]
	v_fma_f64 v[0:1], v[0:1], 2.0, -v[26:27]
	v_fma_f64 v[2:3], v[2:3], 2.0, -v[32:33]
	v_add_f64 v[22:23], v[6:7], -v[22:23]
	v_add_f64 v[18:19], v[16:17], v[18:19]
	v_fma_f64 v[42:43], v[42:43], 2.0, -v[46:47]
	v_fma_f64 v[56:57], v[56:57], 2.0, -v[58:59]
	v_add_f64 v[8:9], v[30:31], -v[8:9]
	v_add_f64 v[14:15], v[38:39], v[14:15]
	v_fma_f64 v[48:49], v[48:49], 2.0, -v[62:63]
	v_fma_f64 v[50:51], v[50:51], 2.0, -v[44:45]
	v_add_f64 v[12:13], v[34:35], -v[12:13]
	v_add_f64 v[60:61], v[28:29], v[60:61]
	v_fma_f64 v[52:53], v[52:53], 2.0, -v[40:41]
	v_fma_f64 v[54:55], v[54:55], 2.0, -v[36:37]
	v_add_f64 v[4:5], v[24:25], -v[4:5]
	v_add_f64 v[10:11], v[20:21], v[10:11]
	v_fma_f64 v[6:7], v[6:7], 2.0, -v[22:23]
	v_fma_f64 v[16:17], v[16:17], 2.0, -v[18:19]
	;; [unrolled: 1-line block ×8, first 2 shown]
	v_add_f64 v[42:43], v[0:1], -v[42:43]
	v_add_f64 v[56:57], v[2:3], -v[56:57]
	;; [unrolled: 1-line block ×4, first 2 shown]
	v_fma_f64 v[64:65], v[0:1], 2.0, -v[42:43]
	v_fma_f64 v[66:67], v[2:3], 2.0, -v[56:57]
	v_fma_f64 v[68:69], s[0:1], v[30:31], v[6:7]
	v_fma_f64 v[70:71], s[0:1], v[38:39], v[16:17]
	;; [unrolled: 1-line block ×3, first 2 shown]
	v_fma_f64 v[0:1], v[48:49], 2.0, -v[52:53]
	v_fma_f64 v[2:3], v[50:51], 2.0, -v[54:55]
	v_fma_f64 v[48:49], s[0:1], v[24:25], v[34:35]
	v_fma_f64 v[50:51], s[0:1], v[20:21], v[28:29]
	v_fmac_f64_e32 v[68:69], s[0:1], v[38:39]
	v_fmac_f64_e32 v[70:71], s[4:5], v[30:31]
	v_fma_f64 v[74:75], s[4:5], v[8:9], v[22:23]
	v_fmac_f64_e32 v[76:77], s[4:5], v[8:9]
	v_fmac_f64_e32 v[48:49], s[0:1], v[20:21]
	;; [unrolled: 1-line block ×3, first 2 shown]
	v_add_f64 v[78:79], v[62:63], -v[36:37]
	v_fma_f64 v[30:31], v[6:7], 2.0, -v[68:69]
	v_fma_f64 v[16:17], v[16:17], 2.0, -v[70:71]
	v_add_f64 v[72:73], v[32:33], v[46:47]
	v_fmac_f64_e32 v[74:75], s[0:1], v[14:15]
	v_fma_f64 v[46:47], v[18:19], 2.0, -v[76:77]
	v_fma_f64 v[14:15], v[34:35], 2.0, -v[48:49]
	;; [unrolled: 1-line block ×3, first 2 shown]
	v_add_f64 v[80:81], v[44:45], v[40:41]
	v_fma_f64 v[20:21], v[62:63], 2.0, -v[78:79]
	v_fma_f64 v[62:63], s[4:5], v[4:5], v[12:13]
	v_add_f64 v[58:59], v[26:27], -v[58:59]
	v_fma_f64 v[32:33], v[32:33], 2.0, -v[72:73]
	v_fma_f64 v[38:39], v[22:23], 2.0, -v[74:75]
	;; [unrolled: 1-line block ×3, first 2 shown]
	v_fma_f64 v[82:83], s[4:5], v[10:11], v[60:61]
	v_fmac_f64_e32 v[62:63], s[0:1], v[10:11]
	v_fma_f64 v[8:9], s[12:13], v[14:15], v[30:31]
	v_fma_f64 v[10:11], s[12:13], v[18:19], v[16:17]
	v_fma_f64 v[26:27], v[26:27], 2.0, -v[58:59]
	v_fmac_f64_e32 v[8:9], s[10:11], v[18:19]
	v_fmac_f64_e32 v[10:11], s[14:15], v[14:15]
	v_fma_f64 v[18:19], s[0:1], v[22:23], v[32:33]
	v_fma_f64 v[14:15], v[16:17], 2.0, -v[10:11]
	v_fma_f64 v[16:17], s[0:1], v[20:21], v[26:27]
	v_fmac_f64_e32 v[18:19], s[4:5], v[20:21]
	v_fmac_f64_e32 v[16:17], s[0:1], v[22:23]
	v_fma_f64 v[22:23], v[32:33], 2.0, -v[18:19]
	v_add_f64 v[32:33], v[42:43], -v[54:55]
	v_fmac_f64_e32 v[82:83], s[4:5], v[4:5]
	v_fma_f64 v[28:29], v[12:13], 2.0, -v[62:63]
	v_fma_f64 v[36:37], v[42:43], 2.0, -v[32:33]
	v_fma_f64 v[42:43], s[14:15], v[50:51], v[70:71]
	v_fma_f64 v[34:35], v[60:61], 2.0, -v[82:83]
	v_fma_f64 v[24:25], s[10:11], v[28:29], v[38:39]
	v_fma_f64 v[40:41], s[14:15], v[48:49], v[68:69]
	v_fmac_f64_e32 v[42:43], s[16:17], v[48:49]
	v_fma_f64 v[48:49], s[4:5], v[78:79], v[58:59]
	v_fma_f64 v[20:21], v[26:27], 2.0, -v[16:17]
	v_fma_f64 v[26:27], s[10:11], v[34:35], v[46:47]
	v_fmac_f64_e32 v[24:25], s[12:13], v[34:35]
	v_add_f64 v[34:35], v[56:57], v[52:53]
	v_fmac_f64_e32 v[48:49], s[0:1], v[80:81]
	v_add_f64 v[0:1], v[64:65], -v[0:1]
	v_add_f64 v[2:3], v[66:67], -v[2:3]
	v_fmac_f64_e32 v[26:27], s[16:17], v[28:29]
	v_fma_f64 v[28:29], v[38:39], 2.0, -v[24:25]
	v_fma_f64 v[38:39], v[56:57], 2.0, -v[34:35]
	v_fmac_f64_e32 v[40:41], s[12:13], v[50:51]
	v_fma_f64 v[50:51], s[4:5], v[80:81], v[72:73]
	v_fma_f64 v[52:53], v[58:59], 2.0, -v[48:49]
	v_fma_f64 v[56:57], s[16:17], v[62:63], v[74:75]
	v_fma_f64 v[58:59], s[16:17], v[82:83], v[76:77]
	v_fma_f64 v[4:5], v[64:65], 2.0, -v[0:1]
	v_fma_f64 v[6:7], v[66:67], 2.0, -v[2:3]
	v_fmac_f64_e32 v[50:51], s[4:5], v[78:79]
	v_fmac_f64_e32 v[56:57], s[10:11], v[82:83]
	;; [unrolled: 1-line block ×3, first 2 shown]
	v_fma_f64 v[12:13], v[30:31], 2.0, -v[8:9]
	v_fma_f64 v[30:31], v[46:47], 2.0, -v[26:27]
	;; [unrolled: 1-line block ×7, first 2 shown]
	ds_write_b128 v108, v[4:7]
	ds_write_b128 v108, v[12:15] offset:768
	ds_write_b128 v108, v[20:23] offset:1536
	ds_write_b128 v108, v[28:31] offset:2304
	ds_write_b128 v110, v[36:39]
	ds_write_b128 v108, v[44:47] offset:3840
	ds_write_b128 v108, v[52:55] offset:4608
	;; [unrolled: 1-line block ×11, first 2 shown]
	s_waitcnt lgkmcnt(0)
	; wave barrier
	s_waitcnt lgkmcnt(0)
	ds_read_b128 v[4:7], v108
	s_add_u32 s4, s8, 0x2f00
	v_lshlrev_b32_e32 v0, 4, v86
	s_addc_u32 s5, s9, 0
	v_sub_u32_e32 v12, 0, v0
	v_cmp_ne_u32_e64 s[0:1], 0, v86
                                        ; implicit-def: $vgpr0_vgpr1
                                        ; implicit-def: $vgpr8_vgpr9
                                        ; implicit-def: $vgpr10_vgpr11
	s_and_saveexec_b64 s[8:9], s[0:1]
	s_xor_b64 s[0:1], exec, s[8:9]
	s_cbranch_execz .LBB0_19
; %bb.18:
	v_mov_b32_e32 v87, 0
	v_lshl_add_u64 v[0:1], v[86:87], 4, s[4:5]
	global_load_dwordx4 v[14:17], v[0:1], off
	ds_read_b128 v[0:3], v12 offset:12288
	s_waitcnt lgkmcnt(0)
	v_add_f64 v[18:19], v[4:5], v[0:1]
	v_add_f64 v[0:1], v[4:5], -v[0:1]
	v_add_f64 v[8:9], v[6:7], v[2:3]
	v_add_f64 v[2:3], v[6:7], -v[2:3]
	v_mul_f64 v[6:7], v[0:1], 0.5
	v_mul_f64 v[4:5], v[8:9], 0.5
	;; [unrolled: 1-line block ×3, first 2 shown]
	s_waitcnt vmcnt(0)
	v_mul_f64 v[2:3], v[6:7], v[16:17]
	v_fma_f64 v[10:11], v[4:5], v[16:17], v[0:1]
	v_fma_f64 v[16:17], v[4:5], v[16:17], -v[0:1]
	v_fma_f64 v[8:9], 0.5, v[18:19], v[2:3]
	v_fma_f64 v[0:1], v[18:19], 0.5, -v[2:3]
	v_fma_f64 v[10:11], -v[14:15], v[6:7], v[10:11]
	v_fmac_f64_e32 v[8:9], v[4:5], v[14:15]
	v_fma_f64 v[0:1], -v[4:5], v[14:15], v[0:1]
	v_fma_f64 v[2:3], -v[14:15], v[6:7], v[16:17]
                                        ; implicit-def: $vgpr4_vgpr5
.LBB0_19:
	s_andn2_saveexec_b64 s[0:1], s[0:1]
	s_cbranch_execz .LBB0_21
; %bb.20:
	v_mov_b32_e32 v13, 0
	ds_read_b64 v[2:3], v13 offset:6152
	v_mov_b64_e32 v[10:11], 0
	s_waitcnt lgkmcnt(1)
	v_add_f64 v[8:9], v[4:5], v[6:7]
	v_add_f64 v[0:1], v[4:5], -v[6:7]
	s_waitcnt lgkmcnt(0)
	v_xor_b32_e32 v3, 0x80000000, v3
	ds_write_b64 v13, v[2:3] offset:6152
	v_mov_b64_e32 v[2:3], v[10:11]
.LBB0_21:
	s_or_b64 exec, exec, s[0:1]
	v_mov_b32_e32 v91, 0
	s_waitcnt lgkmcnt(0)
	v_lshl_add_u64 v[4:5], v[90:91], 4, s[4:5]
	global_load_dwordx4 v[4:7], v[4:5], off
	v_mov_b32_e32 v99, v91
	v_lshl_add_u64 v[14:15], v[98:99], 4, s[4:5]
	global_load_dwordx4 v[14:17], v[14:15], off
	v_mov_b32_e32 v97, v91
	v_lshl_add_u64 v[18:19], v[96:97], 4, s[4:5]
	global_load_dwordx4 v[18:21], v[18:19], off
	ds_write2_b64 v108, v[8:9], v[10:11] offset1:1
	ds_write_b128 v12, v[0:3] offset:12288
	v_mov_b32_e32 v95, v91
	ds_read_b128 v[0:3], v93
	ds_read_b128 v[8:11], v12 offset:11520
	v_lshl_add_u64 v[22:23], v[94:95], 4, s[4:5]
	global_load_dwordx4 v[22:25], v[22:23], off
	v_add_u32_e32 v90, 0x120, v86
	v_add_u32_e32 v13, 0x1000, v108
	s_waitcnt lgkmcnt(0)
	v_add_f64 v[26:27], v[0:1], v[8:9]
	v_add_f64 v[0:1], v[0:1], -v[8:9]
	v_add_f64 v[28:29], v[2:3], v[10:11]
	v_add_f64 v[2:3], v[2:3], -v[10:11]
	v_mul_f64 v[0:1], v[0:1], 0.5
	v_mul_f64 v[8:9], v[28:29], 0.5
	;; [unrolled: 1-line block ×3, first 2 shown]
	s_waitcnt vmcnt(3)
	v_mul_f64 v[10:11], v[0:1], v[6:7]
	v_fma_f64 v[28:29], v[8:9], v[6:7], v[2:3]
	v_fma_f64 v[2:3], v[8:9], v[6:7], -v[2:3]
	v_fma_f64 v[6:7], 0.5, v[26:27], v[10:11]
	v_fma_f64 v[28:29], -v[4:5], v[0:1], v[28:29]
	v_fma_f64 v[10:11], v[26:27], 0.5, -v[10:11]
	v_fmac_f64_e32 v[6:7], v[8:9], v[4:5]
	v_fma_f64 v[2:3], -v[4:5], v[0:1], v[2:3]
	v_fma_f64 v[0:1], -v[8:9], v[4:5], v[10:11]
	ds_write2_b64 v93, v[6:7], v[28:29] offset1:1
	ds_write_b128 v12, v[0:3] offset:11520
	v_mov_b32_e32 v93, v91
	v_lshl_add_u64 v[8:9], v[92:93], 4, s[4:5]
	ds_read_b128 v[0:3], v112
	ds_read_b128 v[4:7], v12 offset:10752
	global_load_dwordx4 v[8:11], v[8:9], off
	s_waitcnt lgkmcnt(0)
	v_add_f64 v[26:27], v[0:1], v[4:5]
	v_add_f64 v[0:1], v[0:1], -v[4:5]
	v_add_f64 v[28:29], v[2:3], v[6:7]
	v_add_f64 v[2:3], v[2:3], -v[6:7]
	v_mul_f64 v[0:1], v[0:1], 0.5
	v_mul_f64 v[4:5], v[28:29], 0.5
	;; [unrolled: 1-line block ×3, first 2 shown]
	s_waitcnt vmcnt(3)
	v_mul_f64 v[6:7], v[0:1], v[16:17]
	v_fma_f64 v[28:29], v[4:5], v[16:17], v[2:3]
	v_fma_f64 v[2:3], v[4:5], v[16:17], -v[2:3]
	v_fma_f64 v[16:17], 0.5, v[26:27], v[6:7]
	v_fma_f64 v[28:29], -v[14:15], v[0:1], v[28:29]
	v_fma_f64 v[6:7], v[26:27], 0.5, -v[6:7]
	v_fmac_f64_e32 v[16:17], v[4:5], v[14:15]
	v_fma_f64 v[2:3], -v[14:15], v[0:1], v[2:3]
	v_fma_f64 v[0:1], -v[4:5], v[14:15], v[6:7]
	ds_write2_b64 v112, v[16:17], v[28:29] offset1:1
	ds_write_b128 v12, v[0:3] offset:10752
	v_lshl_add_u64 v[14:15], v[90:91], 4, s[4:5]
	ds_read_b128 v[0:3], v111
	ds_read_b128 v[4:7], v12 offset:9984
	global_load_dwordx4 v[14:17], v[14:15], off
	v_add_u32_e32 v90, 0x150, v86
	s_waitcnt lgkmcnt(0)
	v_add_f64 v[26:27], v[0:1], v[4:5]
	v_add_f64 v[0:1], v[0:1], -v[4:5]
	v_add_f64 v[28:29], v[2:3], v[6:7]
	v_add_f64 v[2:3], v[2:3], -v[6:7]
	v_mul_f64 v[0:1], v[0:1], 0.5
	v_mul_f64 v[4:5], v[28:29], 0.5
	;; [unrolled: 1-line block ×3, first 2 shown]
	s_waitcnt vmcnt(3)
	v_mul_f64 v[6:7], v[0:1], v[20:21]
	v_fma_f64 v[28:29], v[4:5], v[20:21], v[2:3]
	v_fma_f64 v[2:3], v[4:5], v[20:21], -v[2:3]
	v_fma_f64 v[20:21], 0.5, v[26:27], v[6:7]
	v_fma_f64 v[28:29], -v[18:19], v[0:1], v[28:29]
	v_fma_f64 v[6:7], v[26:27], 0.5, -v[6:7]
	v_fmac_f64_e32 v[20:21], v[4:5], v[18:19]
	v_fma_f64 v[2:3], -v[18:19], v[0:1], v[2:3]
	v_fma_f64 v[0:1], -v[4:5], v[18:19], v[6:7]
	ds_write2_b64 v111, v[20:21], v[28:29] offset1:1
	ds_write_b128 v12, v[0:3] offset:9984
	v_lshl_add_u64 v[18:19], v[90:91], 4, s[4:5]
	ds_read_b128 v[0:3], v110
	ds_read_b128 v[4:7], v12 offset:9216
	global_load_dwordx4 v[18:21], v[18:19], off
	s_waitcnt lgkmcnt(0)
	v_add_f64 v[26:27], v[0:1], v[4:5]
	v_add_f64 v[0:1], v[0:1], -v[4:5]
	v_add_f64 v[28:29], v[2:3], v[6:7]
	v_add_f64 v[2:3], v[2:3], -v[6:7]
	v_mul_f64 v[0:1], v[0:1], 0.5
	v_mul_f64 v[4:5], v[28:29], 0.5
	;; [unrolled: 1-line block ×3, first 2 shown]
	s_waitcnt vmcnt(3)
	v_mul_f64 v[6:7], v[0:1], v[24:25]
	v_fma_f64 v[28:29], v[4:5], v[24:25], v[2:3]
	v_fma_f64 v[2:3], v[4:5], v[24:25], -v[2:3]
	v_fma_f64 v[24:25], 0.5, v[26:27], v[6:7]
	v_fma_f64 v[28:29], -v[22:23], v[0:1], v[28:29]
	v_fma_f64 v[6:7], v[26:27], 0.5, -v[6:7]
	v_fmac_f64_e32 v[24:25], v[4:5], v[22:23]
	v_fma_f64 v[2:3], -v[22:23], v[0:1], v[2:3]
	v_fma_f64 v[0:1], -v[4:5], v[22:23], v[6:7]
	ds_write2_b64 v110, v[24:25], v[28:29] offset1:1
	ds_write_b128 v12, v[0:3] offset:9216
	ds_read_b128 v[0:3], v109
	ds_read_b128 v[4:7], v12 offset:8448
	s_waitcnt lgkmcnt(0)
	v_add_f64 v[22:23], v[0:1], v[4:5]
	v_add_f64 v[0:1], v[0:1], -v[4:5]
	v_add_f64 v[24:25], v[2:3], v[6:7]
	v_add_f64 v[2:3], v[2:3], -v[6:7]
	v_mul_f64 v[0:1], v[0:1], 0.5
	v_mul_f64 v[4:5], v[24:25], 0.5
	;; [unrolled: 1-line block ×3, first 2 shown]
	s_waitcnt vmcnt(2)
	v_mul_f64 v[6:7], v[0:1], v[10:11]
	v_fma_f64 v[24:25], v[4:5], v[10:11], v[2:3]
	v_fma_f64 v[2:3], v[4:5], v[10:11], -v[2:3]
	v_fma_f64 v[10:11], 0.5, v[22:23], v[6:7]
	v_fma_f64 v[24:25], -v[8:9], v[0:1], v[24:25]
	v_fma_f64 v[6:7], v[22:23], 0.5, -v[6:7]
	v_fmac_f64_e32 v[10:11], v[4:5], v[8:9]
	v_fma_f64 v[2:3], -v[8:9], v[0:1], v[2:3]
	v_fma_f64 v[0:1], -v[4:5], v[8:9], v[6:7]
	ds_write2_b64 v109, v[10:11], v[24:25] offset1:1
	ds_write_b128 v12, v[0:3] offset:8448
	ds_read_b128 v[0:3], v108 offset:4608
	ds_read_b128 v[4:7], v12 offset:7680
	s_waitcnt lgkmcnt(0)
	v_add_f64 v[8:9], v[0:1], v[4:5]
	v_add_f64 v[0:1], v[0:1], -v[4:5]
	v_add_f64 v[10:11], v[2:3], v[6:7]
	v_add_f64 v[2:3], v[2:3], -v[6:7]
	v_mul_f64 v[6:7], v[0:1], 0.5
	v_mul_f64 v[4:5], v[10:11], 0.5
	;; [unrolled: 1-line block ×3, first 2 shown]
	s_waitcnt vmcnt(1)
	v_mul_f64 v[2:3], v[6:7], v[16:17]
	v_fma_f64 v[10:11], v[4:5], v[16:17], v[0:1]
	v_fma_f64 v[22:23], 0.5, v[8:9], v[2:3]
	v_fma_f64 v[16:17], v[4:5], v[16:17], -v[0:1]
	v_fma_f64 v[10:11], -v[14:15], v[6:7], v[10:11]
	v_fma_f64 v[0:1], v[8:9], 0.5, -v[2:3]
	v_fmac_f64_e32 v[22:23], v[4:5], v[14:15]
	v_fma_f64 v[0:1], -v[4:5], v[14:15], v[0:1]
	v_fma_f64 v[2:3], -v[14:15], v[6:7], v[16:17]
	ds_write2_b64 v13, v[22:23], v[10:11] offset0:64 offset1:65
	ds_write_b128 v12, v[0:3] offset:7680
	ds_read_b128 v[0:3], v108 offset:5376
	ds_read_b128 v[4:7], v12 offset:6912
	s_waitcnt lgkmcnt(0)
	v_add_f64 v[8:9], v[0:1], v[4:5]
	v_add_f64 v[0:1], v[0:1], -v[4:5]
	v_add_f64 v[10:11], v[2:3], v[6:7]
	v_add_f64 v[2:3], v[2:3], -v[6:7]
	v_mul_f64 v[4:5], v[0:1], 0.5
	v_mul_f64 v[10:11], v[10:11], 0.5
	;; [unrolled: 1-line block ×3, first 2 shown]
	s_waitcnt vmcnt(0)
	v_mul_f64 v[0:1], v[4:5], v[20:21]
	v_fma_f64 v[6:7], 0.5, v[8:9], v[0:1]
	v_fma_f64 v[14:15], v[10:11], v[20:21], v[2:3]
	v_fmac_f64_e32 v[6:7], v[10:11], v[18:19]
	v_fma_f64 v[14:15], -v[18:19], v[4:5], v[14:15]
	v_fma_f64 v[0:1], v[8:9], 0.5, -v[0:1]
	v_fma_f64 v[2:3], v[10:11], v[20:21], -v[2:3]
	v_fma_f64 v[0:1], -v[10:11], v[18:19], v[0:1]
	v_fma_f64 v[2:3], -v[18:19], v[4:5], v[2:3]
	ds_write2_b64 v13, v[6:7], v[14:15] offset0:160 offset1:161
	ds_write_b128 v12, v[0:3] offset:6912
	s_waitcnt lgkmcnt(0)
	; wave barrier
	s_waitcnt lgkmcnt(0)
	s_and_saveexec_b64 s[0:1], vcc
	s_cbranch_execz .LBB0_24
; %bb.22:
	v_mul_lo_u32 v2, s3, v88
	v_mul_lo_u32 v3, s2, v89
	v_mad_u64_u32 v[0:1], s[0:1], s2, v88, 0
	v_lshl_add_u32 v12, v86, 4, 0
	v_add3_u32 v1, v1, v3, v2
	ds_read_b128 v[2:5], v12
	ds_read_b128 v[6:9], v12 offset:768
	v_lshl_add_u64 v[0:1], v[0:1], 4, s[6:7]
	v_mov_b32_e32 v87, v91
	v_lshl_add_u64 v[0:1], v[84:85], 4, v[0:1]
	v_lshl_add_u64 v[10:11], v[86:87], 4, v[0:1]
	v_add_u32_e32 v90, 48, v86
	s_waitcnt lgkmcnt(1)
	global_store_dwordx4 v[10:11], v[2:5], off
	v_lshl_add_u64 v[10:11], v[90:91], 4, v[0:1]
	ds_read_b128 v[2:5], v12 offset:1536
	s_waitcnt lgkmcnt(1)
	global_store_dwordx4 v[10:11], v[6:9], off
	ds_read_b128 v[6:9], v12 offset:2304
	v_add_u32_e32 v90, 0x60, v86
	v_lshl_add_u64 v[10:11], v[90:91], 4, v[0:1]
	v_add_u32_e32 v90, 0x90, v86
	s_waitcnt lgkmcnt(1)
	global_store_dwordx4 v[10:11], v[2:5], off
	v_lshl_add_u64 v[10:11], v[90:91], 4, v[0:1]
	ds_read_b128 v[2:5], v12 offset:3072
	s_waitcnt lgkmcnt(1)
	global_store_dwordx4 v[10:11], v[6:9], off
	ds_read_b128 v[6:9], v12 offset:3840
	v_add_u32_e32 v90, 0xc0, v86
	;; [unrolled: 10-line block ×7, first 2 shown]
	v_lshl_add_u64 v[10:11], v[90:91], 4, v[0:1]
	v_add_u32_e32 v90, 0x2d0, v86
	s_waitcnt lgkmcnt(1)
	global_store_dwordx4 v[10:11], v[2:5], off
	v_cmp_eq_u32_e32 vcc, 47, v86
	s_nop 0
	v_lshl_add_u64 v[2:3], v[90:91], 4, v[0:1]
	s_waitcnt lgkmcnt(0)
	global_store_dwordx4 v[2:3], v[6:9], off
	s_and_b64 exec, exec, vcc
	s_cbranch_execz .LBB0_24
; %bb.23:
	v_mov_b32_e32 v2, 0
	ds_read_b128 v[2:5], v2 offset:12288
	v_add_co_u32_e32 v0, vcc, 0x3000, v0
	s_nop 1
	v_addc_co_u32_e32 v1, vcc, 0, v1, vcc
	s_waitcnt lgkmcnt(0)
	global_store_dwordx4 v[0:1], v[2:5], off
.LBB0_24:
	s_endpgm
	.section	.rodata,"a",@progbits
	.p2align	6, 0x0
	.amdhsa_kernel fft_rtc_fwd_len768_factors_16_3_16_wgs_48_tpt_48_halfLds_dp_op_CI_CI_unitstride_sbrr_R2C_dirReg
		.amdhsa_group_segment_fixed_size 0
		.amdhsa_private_segment_fixed_size 0
		.amdhsa_kernarg_size 104
		.amdhsa_user_sgpr_count 2
		.amdhsa_user_sgpr_dispatch_ptr 0
		.amdhsa_user_sgpr_queue_ptr 0
		.amdhsa_user_sgpr_kernarg_segment_ptr 1
		.amdhsa_user_sgpr_dispatch_id 0
		.amdhsa_user_sgpr_kernarg_preload_length 0
		.amdhsa_user_sgpr_kernarg_preload_offset 0
		.amdhsa_user_sgpr_private_segment_size 0
		.amdhsa_uses_dynamic_stack 0
		.amdhsa_enable_private_segment 0
		.amdhsa_system_sgpr_workgroup_id_x 1
		.amdhsa_system_sgpr_workgroup_id_y 0
		.amdhsa_system_sgpr_workgroup_id_z 0
		.amdhsa_system_sgpr_workgroup_info 0
		.amdhsa_system_vgpr_workitem_id 0
		.amdhsa_next_free_vgpr 120
		.amdhsa_next_free_sgpr 28
		.amdhsa_accum_offset 120
		.amdhsa_reserve_vcc 1
		.amdhsa_float_round_mode_32 0
		.amdhsa_float_round_mode_16_64 0
		.amdhsa_float_denorm_mode_32 3
		.amdhsa_float_denorm_mode_16_64 3
		.amdhsa_dx10_clamp 1
		.amdhsa_ieee_mode 1
		.amdhsa_fp16_overflow 0
		.amdhsa_tg_split 0
		.amdhsa_exception_fp_ieee_invalid_op 0
		.amdhsa_exception_fp_denorm_src 0
		.amdhsa_exception_fp_ieee_div_zero 0
		.amdhsa_exception_fp_ieee_overflow 0
		.amdhsa_exception_fp_ieee_underflow 0
		.amdhsa_exception_fp_ieee_inexact 0
		.amdhsa_exception_int_div_zero 0
	.end_amdhsa_kernel
	.text
.Lfunc_end0:
	.size	fft_rtc_fwd_len768_factors_16_3_16_wgs_48_tpt_48_halfLds_dp_op_CI_CI_unitstride_sbrr_R2C_dirReg, .Lfunc_end0-fft_rtc_fwd_len768_factors_16_3_16_wgs_48_tpt_48_halfLds_dp_op_CI_CI_unitstride_sbrr_R2C_dirReg
                                        ; -- End function
	.section	.AMDGPU.csdata,"",@progbits
; Kernel info:
; codeLenInByte = 9216
; NumSgprs: 34
; NumVgprs: 120
; NumAgprs: 0
; TotalNumVgprs: 120
; ScratchSize: 0
; MemoryBound: 0
; FloatMode: 240
; IeeeMode: 1
; LDSByteSize: 0 bytes/workgroup (compile time only)
; SGPRBlocks: 4
; VGPRBlocks: 14
; NumSGPRsForWavesPerEU: 34
; NumVGPRsForWavesPerEU: 120
; AccumOffset: 120
; Occupancy: 4
; WaveLimiterHint : 1
; COMPUTE_PGM_RSRC2:SCRATCH_EN: 0
; COMPUTE_PGM_RSRC2:USER_SGPR: 2
; COMPUTE_PGM_RSRC2:TRAP_HANDLER: 0
; COMPUTE_PGM_RSRC2:TGID_X_EN: 1
; COMPUTE_PGM_RSRC2:TGID_Y_EN: 0
; COMPUTE_PGM_RSRC2:TGID_Z_EN: 0
; COMPUTE_PGM_RSRC2:TIDIG_COMP_CNT: 0
; COMPUTE_PGM_RSRC3_GFX90A:ACCUM_OFFSET: 29
; COMPUTE_PGM_RSRC3_GFX90A:TG_SPLIT: 0
	.text
	.p2alignl 6, 3212836864
	.fill 256, 4, 3212836864
	.type	__hip_cuid_4c3fa37a0c22c058,@object ; @__hip_cuid_4c3fa37a0c22c058
	.section	.bss,"aw",@nobits
	.globl	__hip_cuid_4c3fa37a0c22c058
__hip_cuid_4c3fa37a0c22c058:
	.byte	0                               ; 0x0
	.size	__hip_cuid_4c3fa37a0c22c058, 1

	.ident	"AMD clang version 19.0.0git (https://github.com/RadeonOpenCompute/llvm-project roc-6.4.0 25133 c7fe45cf4b819c5991fe208aaa96edf142730f1d)"
	.section	".note.GNU-stack","",@progbits
	.addrsig
	.addrsig_sym __hip_cuid_4c3fa37a0c22c058
	.amdgpu_metadata
---
amdhsa.kernels:
  - .agpr_count:     0
    .args:
      - .actual_access:  read_only
        .address_space:  global
        .offset:         0
        .size:           8
        .value_kind:     global_buffer
      - .offset:         8
        .size:           8
        .value_kind:     by_value
      - .actual_access:  read_only
        .address_space:  global
        .offset:         16
        .size:           8
        .value_kind:     global_buffer
      - .actual_access:  read_only
        .address_space:  global
        .offset:         24
        .size:           8
        .value_kind:     global_buffer
      - .actual_access:  read_only
        .address_space:  global
        .offset:         32
        .size:           8
        .value_kind:     global_buffer
      - .offset:         40
        .size:           8
        .value_kind:     by_value
      - .actual_access:  read_only
        .address_space:  global
        .offset:         48
        .size:           8
        .value_kind:     global_buffer
      - .actual_access:  read_only
        .address_space:  global
        .offset:         56
        .size:           8
        .value_kind:     global_buffer
      - .offset:         64
        .size:           4
        .value_kind:     by_value
      - .actual_access:  read_only
        .address_space:  global
        .offset:         72
        .size:           8
        .value_kind:     global_buffer
      - .actual_access:  read_only
        .address_space:  global
        .offset:         80
        .size:           8
        .value_kind:     global_buffer
      - .actual_access:  read_only
        .address_space:  global
        .offset:         88
        .size:           8
        .value_kind:     global_buffer
      - .actual_access:  write_only
        .address_space:  global
        .offset:         96
        .size:           8
        .value_kind:     global_buffer
    .group_segment_fixed_size: 0
    .kernarg_segment_align: 8
    .kernarg_segment_size: 104
    .language:       OpenCL C
    .language_version:
      - 2
      - 0
    .max_flat_workgroup_size: 48
    .name:           fft_rtc_fwd_len768_factors_16_3_16_wgs_48_tpt_48_halfLds_dp_op_CI_CI_unitstride_sbrr_R2C_dirReg
    .private_segment_fixed_size: 0
    .sgpr_count:     34
    .sgpr_spill_count: 0
    .symbol:         fft_rtc_fwd_len768_factors_16_3_16_wgs_48_tpt_48_halfLds_dp_op_CI_CI_unitstride_sbrr_R2C_dirReg.kd
    .uniform_work_group_size: 1
    .uses_dynamic_stack: false
    .vgpr_count:     120
    .vgpr_spill_count: 0
    .wavefront_size: 64
amdhsa.target:   amdgcn-amd-amdhsa--gfx950
amdhsa.version:
  - 1
  - 2
...

	.end_amdgpu_metadata
